;; amdgpu-corpus repo=ROCm/rocFFT kind=compiled arch=gfx1030 opt=O3
	.text
	.amdgcn_target "amdgcn-amd-amdhsa--gfx1030"
	.amdhsa_code_object_version 6
	.protected	fft_rtc_fwd_len1430_factors_13_11_10_wgs_143_tpt_143_half_op_CI_CI_unitstride_sbrr_R2C_dirReg ; -- Begin function fft_rtc_fwd_len1430_factors_13_11_10_wgs_143_tpt_143_half_op_CI_CI_unitstride_sbrr_R2C_dirReg
	.globl	fft_rtc_fwd_len1430_factors_13_11_10_wgs_143_tpt_143_half_op_CI_CI_unitstride_sbrr_R2C_dirReg
	.p2align	8
	.type	fft_rtc_fwd_len1430_factors_13_11_10_wgs_143_tpt_143_half_op_CI_CI_unitstride_sbrr_R2C_dirReg,@function
fft_rtc_fwd_len1430_factors_13_11_10_wgs_143_tpt_143_half_op_CI_CI_unitstride_sbrr_R2C_dirReg: ; @fft_rtc_fwd_len1430_factors_13_11_10_wgs_143_tpt_143_half_op_CI_CI_unitstride_sbrr_R2C_dirReg
; %bb.0:
	s_clause 0x2
	s_load_dwordx4 s[12:15], s[4:5], 0x0
	s_load_dwordx4 s[8:11], s[4:5], 0x58
	;; [unrolled: 1-line block ×3, first 2 shown]
	v_mul_u32_u24_e32 v1, 0x1cb, v0
	v_mov_b32_e32 v3, 0
	v_mov_b32_e32 v7, 0
	;; [unrolled: 1-line block ×3, first 2 shown]
	v_add_nc_u32_sdwa v9, s6, v1 dst_sel:DWORD dst_unused:UNUSED_PAD src0_sel:DWORD src1_sel:WORD_1
	v_mov_b32_e32 v10, v3
	s_waitcnt lgkmcnt(0)
	v_cmp_lt_u64_e64 s0, s[14:15], 2
	s_and_b32 vcc_lo, exec_lo, s0
	s_cbranch_vccnz .LBB0_8
; %bb.1:
	s_load_dwordx2 s[0:1], s[4:5], 0x10
	v_mov_b32_e32 v7, 0
	v_mov_b32_e32 v8, 0
	s_add_u32 s2, s18, 8
	s_addc_u32 s3, s19, 0
	v_mov_b32_e32 v1, v7
	s_add_u32 s6, s16, 8
	v_mov_b32_e32 v2, v8
	s_addc_u32 s7, s17, 0
	s_mov_b64 s[22:23], 1
	s_waitcnt lgkmcnt(0)
	s_add_u32 s20, s0, 8
	s_addc_u32 s21, s1, 0
.LBB0_2:                                ; =>This Inner Loop Header: Depth=1
	s_load_dwordx2 s[24:25], s[20:21], 0x0
                                        ; implicit-def: $vgpr5_vgpr6
	s_mov_b32 s0, exec_lo
	s_waitcnt lgkmcnt(0)
	v_or_b32_e32 v4, s25, v10
	v_cmpx_ne_u64_e32 0, v[3:4]
	s_xor_b32 s1, exec_lo, s0
	s_cbranch_execz .LBB0_4
; %bb.3:                                ;   in Loop: Header=BB0_2 Depth=1
	v_cvt_f32_u32_e32 v4, s24
	v_cvt_f32_u32_e32 v5, s25
	s_sub_u32 s0, 0, s24
	s_subb_u32 s26, 0, s25
	v_fmac_f32_e32 v4, 0x4f800000, v5
	v_rcp_f32_e32 v4, v4
	v_mul_f32_e32 v4, 0x5f7ffffc, v4
	v_mul_f32_e32 v5, 0x2f800000, v4
	v_trunc_f32_e32 v5, v5
	v_fmac_f32_e32 v4, 0xcf800000, v5
	v_cvt_u32_f32_e32 v5, v5
	v_cvt_u32_f32_e32 v4, v4
	v_mul_lo_u32 v6, s0, v5
	v_mul_hi_u32 v11, s0, v4
	v_mul_lo_u32 v12, s26, v4
	v_add_nc_u32_e32 v6, v11, v6
	v_mul_lo_u32 v11, s0, v4
	v_add_nc_u32_e32 v6, v6, v12
	v_mul_hi_u32 v12, v4, v11
	v_mul_lo_u32 v13, v4, v6
	v_mul_hi_u32 v14, v4, v6
	v_mul_hi_u32 v15, v5, v11
	v_mul_lo_u32 v11, v5, v11
	v_mul_hi_u32 v16, v5, v6
	v_mul_lo_u32 v6, v5, v6
	v_add_co_u32 v12, vcc_lo, v12, v13
	v_add_co_ci_u32_e32 v13, vcc_lo, 0, v14, vcc_lo
	v_add_co_u32 v11, vcc_lo, v12, v11
	v_add_co_ci_u32_e32 v11, vcc_lo, v13, v15, vcc_lo
	v_add_co_ci_u32_e32 v12, vcc_lo, 0, v16, vcc_lo
	v_add_co_u32 v6, vcc_lo, v11, v6
	v_add_co_ci_u32_e32 v11, vcc_lo, 0, v12, vcc_lo
	v_add_co_u32 v4, vcc_lo, v4, v6
	v_add_co_ci_u32_e32 v5, vcc_lo, v5, v11, vcc_lo
	v_mul_hi_u32 v6, s0, v4
	v_mul_lo_u32 v12, s26, v4
	v_mul_lo_u32 v11, s0, v5
	v_add_nc_u32_e32 v6, v6, v11
	v_mul_lo_u32 v11, s0, v4
	v_add_nc_u32_e32 v6, v6, v12
	v_mul_hi_u32 v12, v4, v11
	v_mul_lo_u32 v13, v4, v6
	v_mul_hi_u32 v14, v4, v6
	v_mul_hi_u32 v15, v5, v11
	v_mul_lo_u32 v11, v5, v11
	v_mul_hi_u32 v16, v5, v6
	v_mul_lo_u32 v6, v5, v6
	v_add_co_u32 v12, vcc_lo, v12, v13
	v_add_co_ci_u32_e32 v13, vcc_lo, 0, v14, vcc_lo
	v_add_co_u32 v11, vcc_lo, v12, v11
	v_add_co_ci_u32_e32 v11, vcc_lo, v13, v15, vcc_lo
	v_add_co_ci_u32_e32 v12, vcc_lo, 0, v16, vcc_lo
	v_add_co_u32 v6, vcc_lo, v11, v6
	v_add_co_ci_u32_e32 v11, vcc_lo, 0, v12, vcc_lo
	v_add_co_u32 v6, vcc_lo, v4, v6
	v_add_co_ci_u32_e32 v13, vcc_lo, v5, v11, vcc_lo
	v_mul_hi_u32 v15, v9, v6
	v_mad_u64_u32 v[11:12], null, v10, v6, 0
	v_mad_u64_u32 v[4:5], null, v9, v13, 0
	;; [unrolled: 1-line block ×3, first 2 shown]
	v_add_co_u32 v4, vcc_lo, v15, v4
	v_add_co_ci_u32_e32 v5, vcc_lo, 0, v5, vcc_lo
	v_add_co_u32 v4, vcc_lo, v4, v11
	v_add_co_ci_u32_e32 v4, vcc_lo, v5, v12, vcc_lo
	v_add_co_ci_u32_e32 v5, vcc_lo, 0, v14, vcc_lo
	v_add_co_u32 v11, vcc_lo, v4, v13
	v_add_co_ci_u32_e32 v6, vcc_lo, 0, v5, vcc_lo
	v_mul_lo_u32 v12, s25, v11
	v_mad_u64_u32 v[4:5], null, s24, v11, 0
	v_mul_lo_u32 v13, s24, v6
	v_sub_co_u32 v4, vcc_lo, v9, v4
	v_add3_u32 v5, v5, v13, v12
	v_sub_nc_u32_e32 v12, v10, v5
	v_subrev_co_ci_u32_e64 v12, s0, s25, v12, vcc_lo
	v_add_co_u32 v13, s0, v11, 2
	v_add_co_ci_u32_e64 v14, s0, 0, v6, s0
	v_sub_co_u32 v15, s0, v4, s24
	v_sub_co_ci_u32_e32 v5, vcc_lo, v10, v5, vcc_lo
	v_subrev_co_ci_u32_e64 v12, s0, 0, v12, s0
	v_cmp_le_u32_e32 vcc_lo, s24, v15
	v_cmp_eq_u32_e64 s0, s25, v5
	v_cndmask_b32_e64 v15, 0, -1, vcc_lo
	v_cmp_le_u32_e32 vcc_lo, s25, v12
	v_cndmask_b32_e64 v16, 0, -1, vcc_lo
	v_cmp_le_u32_e32 vcc_lo, s24, v4
	;; [unrolled: 2-line block ×3, first 2 shown]
	v_cndmask_b32_e64 v17, 0, -1, vcc_lo
	v_cmp_eq_u32_e32 vcc_lo, s25, v12
	v_cndmask_b32_e64 v4, v17, v4, s0
	v_cndmask_b32_e32 v12, v16, v15, vcc_lo
	v_add_co_u32 v15, vcc_lo, v11, 1
	v_add_co_ci_u32_e32 v16, vcc_lo, 0, v6, vcc_lo
	v_cmp_ne_u32_e32 vcc_lo, 0, v12
	v_cndmask_b32_e32 v5, v16, v14, vcc_lo
	v_cndmask_b32_e32 v12, v15, v13, vcc_lo
	v_cmp_ne_u32_e32 vcc_lo, 0, v4
	v_cndmask_b32_e32 v6, v6, v5, vcc_lo
	v_cndmask_b32_e32 v5, v11, v12, vcc_lo
.LBB0_4:                                ;   in Loop: Header=BB0_2 Depth=1
	s_andn2_saveexec_b32 s0, s1
	s_cbranch_execz .LBB0_6
; %bb.5:                                ;   in Loop: Header=BB0_2 Depth=1
	v_cvt_f32_u32_e32 v4, s24
	s_sub_i32 s1, 0, s24
	v_rcp_iflag_f32_e32 v4, v4
	v_mul_f32_e32 v4, 0x4f7ffffe, v4
	v_cvt_u32_f32_e32 v4, v4
	v_mul_lo_u32 v5, s1, v4
	v_mul_hi_u32 v5, v4, v5
	v_add_nc_u32_e32 v4, v4, v5
	v_mul_hi_u32 v4, v9, v4
	v_mul_lo_u32 v5, v4, s24
	v_add_nc_u32_e32 v6, 1, v4
	v_sub_nc_u32_e32 v5, v9, v5
	v_subrev_nc_u32_e32 v11, s24, v5
	v_cmp_le_u32_e32 vcc_lo, s24, v5
	v_cndmask_b32_e32 v5, v5, v11, vcc_lo
	v_cndmask_b32_e32 v4, v4, v6, vcc_lo
	v_cmp_le_u32_e32 vcc_lo, s24, v5
	v_add_nc_u32_e32 v6, 1, v4
	v_cndmask_b32_e32 v5, v4, v6, vcc_lo
	v_mov_b32_e32 v6, v3
.LBB0_6:                                ;   in Loop: Header=BB0_2 Depth=1
	s_or_b32 exec_lo, exec_lo, s0
	v_mul_lo_u32 v4, v6, s24
	v_mul_lo_u32 v13, v5, s25
	s_load_dwordx2 s[0:1], s[6:7], 0x0
	v_mad_u64_u32 v[11:12], null, v5, s24, 0
	s_load_dwordx2 s[24:25], s[2:3], 0x0
	s_add_u32 s22, s22, 1
	s_addc_u32 s23, s23, 0
	s_add_u32 s2, s2, 8
	s_addc_u32 s3, s3, 0
	s_add_u32 s6, s6, 8
	v_add3_u32 v4, v12, v13, v4
	v_sub_co_u32 v9, vcc_lo, v9, v11
	s_addc_u32 s7, s7, 0
	s_add_u32 s20, s20, 8
	v_sub_co_ci_u32_e32 v4, vcc_lo, v10, v4, vcc_lo
	s_addc_u32 s21, s21, 0
	s_waitcnt lgkmcnt(0)
	v_mul_lo_u32 v10, s0, v4
	v_mul_lo_u32 v11, s1, v9
	v_mad_u64_u32 v[7:8], null, s0, v9, v[7:8]
	v_mul_lo_u32 v4, s24, v4
	v_mul_lo_u32 v12, s25, v9
	v_mad_u64_u32 v[1:2], null, s24, v9, v[1:2]
	v_cmp_ge_u64_e64 s0, s[22:23], s[14:15]
	v_add3_u32 v8, v11, v8, v10
	v_add3_u32 v2, v12, v2, v4
	s_and_b32 vcc_lo, exec_lo, s0
	s_cbranch_vccnz .LBB0_9
; %bb.7:                                ;   in Loop: Header=BB0_2 Depth=1
	v_mov_b32_e32 v10, v6
	v_mov_b32_e32 v9, v5
	s_branch .LBB0_2
.LBB0_8:
	v_mov_b32_e32 v1, v7
	v_mov_b32_e32 v5, v9
	;; [unrolled: 1-line block ×4, first 2 shown]
.LBB0_9:
	s_load_dwordx2 s[0:1], s[4:5], 0x28
	v_mul_hi_u32 v4, 0x1ca4b31, v0
	s_lshl_b64 s[4:5], s[14:15], 3
                                        ; implicit-def: $vgpr3
	s_add_u32 s2, s18, s4
	s_addc_u32 s3, s19, s5
	s_waitcnt lgkmcnt(0)
	v_cmp_gt_u64_e32 vcc_lo, s[0:1], v[5:6]
	v_cmp_le_u64_e64 s0, s[0:1], v[5:6]
	s_and_saveexec_b32 s1, s0
	s_xor_b32 s0, exec_lo, s1
; %bb.10:
	v_mul_u32_u24_e32 v3, 0x8f, v4
                                        ; implicit-def: $vgpr4
                                        ; implicit-def: $vgpr7_vgpr8
	v_sub_nc_u32_e32 v3, v0, v3
                                        ; implicit-def: $vgpr0
; %bb.11:
	s_andn2_saveexec_b32 s1, s0
	s_cbranch_execz .LBB0_13
; %bb.12:
	s_add_u32 s4, s16, s4
	s_addc_u32 s5, s17, s5
	v_lshlrev_b64 v[7:8], 2, v[7:8]
	s_load_dwordx2 s[4:5], s[4:5], 0x0
	s_waitcnt lgkmcnt(0)
	v_mul_lo_u32 v3, s5, v5
	v_mul_lo_u32 v11, s4, v6
	v_mad_u64_u32 v[9:10], null, s4, v5, 0
	v_add3_u32 v10, v10, v11, v3
	v_mul_u32_u24_e32 v3, 0x8f, v4
	v_lshlrev_b64 v[9:10], 2, v[9:10]
	v_sub_nc_u32_e32 v3, v0, v3
	v_lshlrev_b32_e32 v13, 2, v3
	v_add_co_u32 v0, s0, s8, v9
	v_add_co_ci_u32_e64 v4, s0, s9, v10, s0
	v_add_co_u32 v0, s0, v0, v7
	v_add_co_ci_u32_e64 v4, s0, v4, v8, s0
	;; [unrolled: 2-line block ×5, first 2 shown]
	s_clause 0x9
	global_load_dword v0, v[7:8], off
	global_load_dword v4, v[7:8], off offset:572
	global_load_dword v14, v[7:8], off offset:1144
	global_load_dword v7, v[7:8], off offset:1716
	global_load_dword v8, v[9:10], off offset:240
	global_load_dword v15, v[9:10], off offset:812
	global_load_dword v16, v[9:10], off offset:1384
	global_load_dword v9, v[9:10], off offset:1956
	global_load_dword v10, v[11:12], off offset:480
	global_load_dword v11, v[11:12], off offset:1052
	v_add_nc_u32_e32 v12, 0, v13
	v_add_nc_u32_e32 v13, 0x400, v12
	;; [unrolled: 1-line block ×5, first 2 shown]
	s_waitcnt vmcnt(8)
	ds_write2_b32 v12, v0, v4 offset1:143
	s_waitcnt vmcnt(6)
	ds_write2_b32 v13, v14, v7 offset0:30 offset1:173
	s_waitcnt vmcnt(4)
	ds_write2_b32 v17, v8, v15 offset0:60 offset1:203
	;; [unrolled: 2-line block ×4, first 2 shown]
.LBB0_13:
	s_or_b32 exec_lo, exec_lo, s1
	v_lshl_add_u32 v0, v3, 2, 0
	s_waitcnt lgkmcnt(0)
	s_barrier
	buffer_gl0_inv
	v_mov_b32_e32 v17, 0xb770
	v_add_nc_u32_e32 v4, 0x200, v0
	ds_read2_b32 v[13:14], v0 offset1:110
	ds_read_b32 v20, v0 offset:5280
	v_add_nc_u32_e32 v11, 0x600, v0
	v_add_nc_u32_e32 v15, 0xc00, v0
	;; [unrolled: 1-line block ×3, first 2 shown]
	ds_read2_b32 v[7:8], v4 offset0:92 offset1:202
	v_add_nc_u32_e32 v4, 0x1000, v0
	v_mov_b32_e32 v21, 0xba95
	v_mov_b32_e32 v22, 0xbb7b
	;; [unrolled: 1-line block ×4, first 2 shown]
	ds_read2_b32 v[9:10], v4 offset0:76 offset1:186
	ds_read2_b32 v[11:12], v11 offset0:56 offset1:166
	;; [unrolled: 1-line block ×4, first 2 shown]
	v_mov_b32_e32 v4, 0xb94e
	v_mov_b32_e32 v23, 0x394e
	;; [unrolled: 1-line block ×4, first 2 shown]
	s_mov_b32 s1, exec_lo
	s_waitcnt lgkmcnt(0)
	v_pk_add_f16 v26, v13, v14
	v_pk_add_f16 v36, v14, v20 neg_lo:[0,1] neg_hi:[0,1]
	v_pk_add_f16 v39, v20, v14
	s_barrier
	buffer_gl0_inv
	v_pk_add_f16 v14, v26, v7
	v_mul_f16_sdwa v17, v36, v17 dst_sel:DWORD dst_unused:UNUSED_PAD src0_sel:WORD_1 src1_sel:DWORD
	v_mul_f16_sdwa v26, v36, v21 dst_sel:DWORD dst_unused:UNUSED_PAD src0_sel:WORD_1 src1_sel:DWORD
	v_pk_mul_f16 v27, 0xbbf1, v36 op_sel_hi:[0,1]
	v_mul_f16_sdwa v51, v36, v22 dst_sel:DWORD dst_unused:UNUSED_PAD src0_sel:WORD_1 src1_sel:DWORD
	v_pk_add_f16 v14, v14, v8
	v_pk_add_f16 v33, v10, v7
	v_pk_add_f16 v35, v7, v10 neg_lo:[0,1] neg_hi:[0,1]
	v_pk_add_f16 v31, v9, v8
	v_pk_add_f16 v32, v8, v9 neg_lo:[0,1] neg_hi:[0,1]
	v_pk_add_f16 v7, v14, v11
	v_fma_f16 v8, v39, 0x3b15, -v17
	v_fma_f16 v14, v39, 0x388b, -v26
	v_pk_fma_f16 v53, 0x2fb7, v39, v27 op_sel:[0,0,1] op_sel_hi:[0,1,0] neg_lo:[0,0,1] neg_hi:[0,0,1]
	v_pk_fma_f16 v55, 0x2fb7, v39, v27 op_sel:[0,0,1] op_sel_hi:[0,1,0]
	v_pk_add_f16 v7, v7, v12
	v_mul_f16_sdwa v27, v35, v21 dst_sel:DWORD dst_unused:UNUSED_PAD src0_sel:WORD_1 src1_sel:DWORD
	v_mul_f16_sdwa v29, v35, v22 dst_sel:DWORD dst_unused:UNUSED_PAD src0_sel:WORD_1 src1_sel:DWORD
	;; [unrolled: 1-line block ×4, first 2 shown]
	v_pk_add_f16 v7, v7, v18
	v_mul_f16_sdwa v30, v32, v44 dst_sel:DWORD dst_unused:UNUSED_PAD src0_sel:WORD_1 src1_sel:DWORD
	v_add_f16_e32 v8, v13, v8
	v_add_f16_e32 v14, v13, v14
	v_fma_f16 v41, v33, 0x388b, -v27
	v_pk_add_f16 v7, v7, v19
	v_fma_f16 v43, v33, 0xb5ac, -v29
	v_fma_f16 v34, v39, 0xb5ac, -v51
	;; [unrolled: 1-line block ×3, first 2 shown]
	v_pk_mul_f16 v40, 0xb3a8, v35 op_sel_hi:[0,1]
	v_pk_add_f16 v7, v7, v15
	v_mul_f16_sdwa v56, v35, v23 dst_sel:DWORD dst_unused:UNUSED_PAD src0_sel:WORD_1 src1_sel:DWORD
	v_mul_f16_sdwa v57, v35, v24 dst_sel:DWORD dst_unused:UNUSED_PAD src0_sel:WORD_1 src1_sel:DWORD
	v_fma_f16 v46, v31, 0xbbc4, -v30
	v_add_f16_e32 v8, v41, v8
	v_pk_add_f16 v7, v7, v16
	v_add_f16_e32 v14, v43, v14
	v_pk_add_f16 v37, v11, v16 neg_lo:[0,1] neg_hi:[0,1]
	v_add_f16_e32 v34, v13, v34
	v_add_f16_e32 v38, v13, v38
	v_pk_add_f16 v7, v7, v9
	v_fma_f16 v9, v31, 0x2fb7, -v28
	v_pk_fma_f16 v58, 0xbbc4, v33, v40 op_sel:[0,0,1] op_sel_hi:[0,1,0] neg_lo:[0,0,1] neg_hi:[0,0,1]
	v_pk_fma_f16 v59, 0xbbc4, v33, v40 op_sel:[0,0,1] op_sel_hi:[0,1,0]
	v_fma_f16 v40, v33, 0xb9fd, -v56
	v_pk_add_f16 v7, v7, v10
	v_fma_f16 v45, v33, 0x2fb7, -v57
	v_add_f16_e32 v8, v9, v8
	v_add_f16_e32 v9, v46, v14
	v_mul_f16_sdwa v14, v32, v49 dst_sel:DWORD dst_unused:UNUSED_PAD src0_sel:WORD_1 src1_sel:DWORD
	v_pk_add_f16 v7, v7, v20
	v_mul_f16_sdwa v20, v32, v21 dst_sel:DWORD dst_unused:UNUSED_PAD src0_sel:WORD_1 src1_sel:DWORD
	v_pk_mul_f16 v42, 0x3b7b, v32 op_sel_hi:[0,1]
	v_add_f16_e32 v10, v40, v34
	v_add_f16_e32 v40, v45, v38
	v_pk_add_f16 v41, v16, v11
	v_mul_f16_sdwa v34, v37, v22 dst_sel:DWORD dst_unused:UNUSED_PAD src0_sel:WORD_1 src1_sel:DWORD
	v_fma_f16 v11, v31, 0x3b15, -v14
	v_fma_f16 v16, v31, 0x388b, -v20
	v_mul_f16_sdwa v38, v37, v23 dst_sel:DWORD dst_unused:UNUSED_PAD src0_sel:WORD_1 src1_sel:DWORD
	v_pk_fma_f16 v21, 0xb5ac, v31, v42 op_sel:[0,0,1] op_sel_hi:[0,1,0] neg_lo:[0,0,1] neg_hi:[0,0,1]
	v_pk_fma_f16 v60, 0xb5ac, v31, v42 op_sel:[0,0,1] op_sel_hi:[0,1,0]
	v_fma_f16 v23, v41, 0xb5ac, -v34
	v_add_f16_e32 v10, v11, v10
	v_add_f16_e32 v11, v16, v40
	v_mov_b32_e32 v16, 0x33a8
	v_fma_f16 v40, v41, 0xb9fd, -v38
	v_mul_f16_sdwa v25, v37, v25 dst_sel:DWORD dst_unused:UNUSED_PAD src0_sel:WORD_1 src1_sel:DWORD
	v_pk_add_f16 v42, v12, v15 neg_lo:[0,1] neg_hi:[0,1]
	v_add_f16_e32 v8, v23, v8
	v_pk_mul_f16 v23, 0x3770, v37 op_sel_hi:[0,1]
	v_mul_f16_sdwa v61, v37, v16 dst_sel:DWORD dst_unused:UNUSED_PAD src0_sel:WORD_1 src1_sel:DWORD
	v_add_f16_e32 v9, v40, v9
	v_fma_f16 v45, v41, 0x2fb7, -v25
	v_pk_add_f16 v43, v15, v12
	v_mul_f16_sdwa v40, v42, v4 dst_sel:DWORD dst_unused:UNUSED_PAD src0_sel:WORD_1 src1_sel:DWORD
	v_bfi_b32 v12, 0xffff, v53, v55
	v_pk_add_f16 v47, v18, v19 neg_lo:[0,1] neg_hi:[0,1]
	v_pk_fma_f16 v62, 0x3b15, v41, v23 op_sel:[0,0,1] op_sel_hi:[0,1,0] neg_lo:[0,0,1] neg_hi:[0,0,1]
	v_fma_f16 v46, v41, 0xbbc4, -v61
	v_pk_fma_f16 v4, 0x3b15, v41, v23 op_sel:[0,0,1] op_sel_hi:[0,1,0]
	v_add_f16_e32 v10, v45, v10
	v_fma_f16 v15, v43, 0xb9fd, -v40
	v_pk_add_f16 v12, v13, v12
	v_bfi_b32 v23, 0xffff, v58, v59
	v_mul_f16_sdwa v45, v42, v24 dst_sel:DWORD dst_unused:UNUSED_PAD src0_sel:WORD_1 src1_sel:DWORD
	v_pk_add_f16 v48, v19, v18
	v_mul_f16_sdwa v44, v47, v44 dst_sel:DWORD dst_unused:UNUSED_PAD src0_sel:WORD_1 src1_sel:DWORD
	v_add_f16_e32 v11, v46, v11
	v_pk_mul_f16 v24, 0xba95, v42 op_sel_hi:[0,1]
	v_pk_add_f16 v12, v23, v12
	v_bfi_b32 v18, 0xffff, v21, v60
	v_add_f16_e32 v8, v15, v8
	v_fma_f16 v15, v43, 0x2fb7, -v45
	v_fma_f16 v23, v48, 0xbbc4, -v44
	v_pk_mul_f16 v50, 0xb94e, v47 op_sel_hi:[0,1]
	v_mul_f16_sdwa v46, v47, v49 dst_sel:DWORD dst_unused:UNUSED_PAD src0_sel:WORD_1 src1_sel:DWORD
	v_mul_f16_sdwa v16, v42, v16 dst_sel:DWORD dst_unused:UNUSED_PAD src0_sel:WORD_1 src1_sel:DWORD
	v_pk_fma_f16 v19, 0x388b, v43, v24 op_sel:[0,0,1] op_sel_hi:[0,1,0] neg_lo:[0,0,1] neg_hi:[0,0,1]
	v_pk_add_f16 v12, v18, v12
	v_bfi_b32 v18, 0xffff, v62, v4
	v_pk_fma_f16 v24, 0x388b, v43, v24 op_sel:[0,0,1] op_sel_hi:[0,1,0]
	v_add_f16_e32 v8, v23, v8
	v_pk_fma_f16 v23, 0xb9fd, v48, v50 op_sel:[0,0,1] op_sel_hi:[0,1,0] neg_lo:[0,0,1] neg_hi:[0,0,1]
	v_pk_fma_f16 v63, 0xb9fd, v48, v50 op_sel:[0,0,1] op_sel_hi:[0,1,0]
	v_add_f16_e32 v9, v15, v9
	v_fma_f16 v15, v48, 0x3b15, -v46
	v_fma_f16 v50, v43, 0xbbc4, -v16
	v_mul_f16_sdwa v64, v42, v49 dst_sel:DWORD dst_unused:UNUSED_PAD src0_sel:WORD_1 src1_sel:DWORD
	v_mov_b32_e32 v49, 0x3a95
	v_lshrrev_b32_e32 v65, 16, v39
	v_pk_add_f16 v12, v18, v12
	v_bfi_b32 v18, 0xffff, v19, v24
	v_add_f16_e32 v9, v15, v9
	v_add_f16_e32 v15, v50, v10
	v_fma_f16 v10, v43, 0x3b15, -v64
	v_mul_f16_sdwa v66, v47, v49 dst_sel:DWORD dst_unused:UNUSED_PAD src0_sel:WORD_1 src1_sel:DWORD
	v_mul_f16_e32 v50, 0x3b15, v65
	v_lshrrev_b32_e32 v67, 16, v33
	v_mul_f16_sdwa v22, v47, v22 dst_sel:DWORD dst_unused:UNUSED_PAD src0_sel:WORD_1 src1_sel:DWORD
	v_pk_add_f16 v12, v18, v12
	v_bfi_b32 v18, 0xffff, v23, v63
	v_add_f16_e32 v52, v10, v11
	v_fma_f16 v11, v48, 0x388b, -v66
	v_fmamk_f16 v68, v36, 0xb770, v50
	v_mul_f16_e32 v49, 0x388b, v67
	v_fma_f16 v69, v48, 0xb5ac, -v22
	v_pk_add_f16 v10, v18, v12
	v_add_f16_e32 v11, v11, v15
	v_add_f16_sdwa v15, v13, v68 dst_sel:DWORD dst_unused:UNUSED_PAD src0_sel:WORD_1 src1_sel:DWORD
	v_fmamk_f16 v18, v35, 0xba95, v49
	v_add_f16_e32 v12, v69, v52
	v_mul_f16_e32 v52, 0x388b, v65
	v_bfi_b32 v55, 0xffff, v55, v53
	v_mul_f16_e32 v68, 0xbb7b, v36
	v_add_f16_e32 v15, v18, v15
	v_mul_f16_e32 v18, 0xb94e, v36
	v_fmamk_f16 v69, v36, 0xba95, v52
	v_mul_f16_e32 v53, 0xb5ac, v67
	v_fmac_f16_e32 v51, 0xb5ac, v39
	v_fmamk_f16 v70, v65, 0xb5ac, v68
	v_fma_f16 v68, v65, 0xb5ac, -v68
	v_fmamk_f16 v71, v65, 0xb9fd, v18
	v_add_f16_sdwa v69, v13, v69 dst_sel:DWORD dst_unused:UNUSED_PAD src0_sel:WORD_1 src1_sel:DWORD
	v_fmamk_f16 v72, v35, 0xbb7b, v53
	v_mul_f16_e32 v73, 0x394e, v35
	v_bfi_b32 v58, 0xffff, v59, v58
	v_pk_add_f16 v55, v13, v55
	v_add_f16_e32 v51, v13, v51
	v_fmac_f16_e32 v56, 0xb9fd, v33
	v_add_f16_sdwa v59, v13, v70 dst_sel:DWORD dst_unused:UNUSED_PAD src0_sel:WORD_1 src1_sel:DWORD
	v_fmamk_f16 v70, v67, 0xb9fd, v73
	v_fma_f16 v18, v65, 0xb9fd, -v18
	v_add_f16_e32 v65, v72, v69
	v_pk_add_f16 v58, v58, v55
	v_add_f16_e32 v56, v56, v51
	v_mul_f16_e32 v69, 0x3bf1, v35
	v_add_f16_sdwa v51, v13, v68 dst_sel:DWORD dst_unused:UNUSED_PAD src0_sel:WORD_1 src1_sel:DWORD
	v_fmac_f16_e32 v54, 0xb9fd, v39
	v_fma_f16 v55, v67, 0xb9fd, -v73
	v_add_f16_sdwa v68, v13, v71 dst_sel:DWORD dst_unused:UNUSED_PAD src0_sel:WORD_1 src1_sel:DWORD
	v_lshrrev_b32_e32 v71, 16, v31
	v_add_f16_e32 v59, v70, v59
	v_fmamk_f16 v70, v67, 0x2fb7, v69
	v_add_f16_e32 v54, v13, v54
	v_fmac_f16_e32 v57, 0x2fb7, v33
	v_add_f16_e32 v72, v55, v51
	v_mul_f16_e32 v51, 0x2fb7, v71
	v_mul_f16_e32 v55, 0xbbc4, v71
	v_add_f16_e32 v68, v70, v68
	v_add_f16_e32 v70, v57, v54
	v_fma_f16 v54, v67, 0x2fb7, -v69
	v_add_f16_sdwa v18, v13, v18 dst_sel:DWORD dst_unused:UNUSED_PAD src0_sel:WORD_1 src1_sel:DWORD
	v_fmamk_f16 v57, v32, 0xbbf1, v51
	v_fmamk_f16 v67, v32, 0xb3a8, v55
	v_mul_f16_e32 v69, 0x3770, v32
	v_bfi_b32 v21, 0xffff, v60, v21
	v_add_f16_e32 v18, v54, v18
	v_add_f16_e32 v15, v57, v15
	;; [unrolled: 1-line block ×3, first 2 shown]
	v_fmamk_f16 v54, v71, 0x3b15, v69
	v_pk_add_f16 v21, v21, v58
	v_fmac_f16_e32 v14, 0x3b15, v31
	v_mul_f16_e32 v58, 0xba95, v32
	v_fma_f16 v57, v71, 0x3b15, -v69
	v_lshrrev_b32_e32 v65, 16, v41
	v_add_f16_e32 v59, v54, v59
	v_add_f16_e32 v14, v14, v56
	v_fmamk_f16 v56, v71, 0x388b, v58
	v_add_f16_e32 v67, v57, v72
	v_fmac_f16_e32 v20, 0x388b, v31
	v_mul_f16_e32 v54, 0xb5ac, v65
	v_mul_f16_e32 v57, 0xb9fd, v65
	v_add_f16_e32 v68, v56, v68
	v_fma_f16 v56, v71, 0x388b, -v58
	v_add_f16_e32 v20, v20, v70
	v_fmamk_f16 v58, v37, 0xbb7b, v54
	v_fmamk_f16 v69, v37, 0x394e, v57
	v_mul_f16_e32 v70, 0xbbf1, v37
	v_add_f16_e32 v18, v56, v18
	v_bfi_b32 v4, 0xffff, v4, v62
	v_add_f16_e32 v15, v58, v15
	v_add_f16_e32 v58, v69, v60
	v_fmamk_f16 v56, v65, 0x2fb7, v70
	v_lshrrev_b32_e32 v69, 16, v43
	v_fmac_f16_e32 v61, 0xbbc4, v41
	v_pk_add_f16 v4, v4, v21
	v_fmac_f16_e32 v25, 0x2fb7, v41
	v_add_f16_e32 v62, v56, v59
	v_mul_f16_e32 v56, 0xb9fd, v69
	v_mul_f16_e32 v21, 0x33a8, v37
	v_fma_f16 v60, v65, 0x2fb7, -v70
	v_mul_f16_e32 v59, 0x2fb7, v69
	v_add_f16_e32 v20, v61, v20
	v_fmamk_f16 v61, v42, 0xb94e, v56
	v_bfi_b32 v19, 0xffff, v24, v19
	v_mul_f16_e32 v24, 0x33a8, v42
	v_add_f16_e32 v14, v25, v14
	v_fmamk_f16 v25, v65, 0xbbc4, v21
	v_add_f16_e32 v60, v60, v67
	v_fma_f16 v21, v65, 0xbbc4, -v21
	v_fmamk_f16 v65, v42, 0x3bf1, v59
	v_add_f16_e32 v15, v61, v15
	v_pk_add_f16 v19, v19, v4
	v_fmamk_f16 v4, v69, 0xbbc4, v24
	v_fmac_f16_e32 v16, 0xbbc4, v43
	v_fma_f16 v24, v69, 0xbbc4, -v24
	v_lshrrev_b32_e32 v61, 16, v48
	v_add_f16_e32 v18, v21, v18
	v_add_f16_e32 v21, v65, v58
	v_mul_f16_e32 v65, 0x3770, v42
	v_add_f16_e32 v14, v16, v14
	v_add_f16_e32 v16, v24, v60
	v_mul_f16_e32 v58, 0xbbc4, v61
	v_mul_f16_e32 v60, 0x3b15, v61
	v_add_f16_e32 v25, v25, v68
	v_add_f16_e32 v62, v4, v62
	v_fmamk_f16 v4, v69, 0x3b15, v65
	v_fmac_f16_e32 v64, 0x3b15, v43
	v_fma_f16 v24, v69, 0x3b15, -v65
	v_fmamk_f16 v65, v47, 0xb3a8, v58
	v_fmamk_f16 v67, v47, 0x3770, v60
	v_add_f16_e32 v25, v4, v25
	v_add_f16_e32 v20, v64, v20
	;; [unrolled: 1-line block ×4, first 2 shown]
	v_bfi_b32 v15, 0xffff, v63, v23
	v_add_f16_e32 v18, v67, v21
	v_fmac_f16_e32 v66, 0x388b, v48
	v_fmac_f16_e32 v22, 0xb5ac, v48
	v_mul_f16_e32 v21, 0x3a95, v47
	v_pk_mul_f16 v23, 0xbbc4, v39 op_sel_hi:[0,1]
	v_pk_add_f16 v19, v15, v19
	v_add_f16_e32 v15, v66, v14
	v_add_f16_e32 v14, v22, v20
	v_fmamk_f16 v20, v61, 0x388b, v21
	v_pk_fma_f16 v63, 0xb3a8, v36, v23 op_sel:[0,0,1] op_sel_hi:[0,1,0]
	v_fma_f16 v21, v61, 0x388b, -v21
	v_pk_mul_f16 v64, 0x3b15, v33 op_sel_hi:[0,1]
	v_pk_fma_f16 v23, 0xb3a8, v36, v23 op_sel:[0,0,1] op_sel_hi:[0,1,0] neg_lo:[0,1,0] neg_hi:[0,1,0]
	v_pk_mul_f16 v66, 0xb9fd, v31 op_sel_hi:[0,1]
	v_pk_add_f16 v63, v13, v63 op_sel:[1,0] op_sel_hi:[0,1]
	v_add_f16_e32 v21, v21, v16
	v_pk_fma_f16 v65, 0x3770, v35, v64 op_sel:[0,0,1] op_sel_hi:[0,1,0]
	v_pk_fma_f16 v16, 0x3770, v35, v64 op_sel:[0,0,1] op_sel_hi:[0,1,0] neg_lo:[0,1,0] neg_hi:[0,1,0]
	v_add_f16_sdwa v64, v13, v23 dst_sel:DWORD dst_unused:UNUSED_PAD src0_sel:WORD_1 src1_sel:DWORD
	v_add_f16_sdwa v23, v13, v23 dst_sel:DWORD dst_unused:UNUSED_PAD src0_sel:DWORD src1_sel:WORD_1
	v_pk_mul_f16 v67, 0x388b, v41 op_sel_hi:[0,1]
	v_pk_add_f16 v63, v65, v63
	v_pk_fma_f16 v65, 0xb94e, v32, v66 op_sel:[0,0,1] op_sel_hi:[0,1,0]
	v_add_f16_e32 v64, v16, v64
	v_pk_fma_f16 v66, 0xb94e, v32, v66 op_sel:[0,0,1] op_sel_hi:[0,1,0] neg_lo:[0,1,0] neg_hi:[0,1,0]
	v_add_f16_sdwa v16, v16, v23 dst_sel:DWORD dst_unused:UNUSED_PAD src0_sel:WORD_1 src1_sel:DWORD
	v_pk_mul_f16 v68, 0xb5ac, v43 op_sel_hi:[0,1]
	v_pk_add_f16 v63, v65, v63
	v_pk_fma_f16 v65, 0x3a95, v37, v67 op_sel:[0,0,1] op_sel_hi:[0,1,0]
	v_add_f16_e32 v23, v66, v64
	v_pk_fma_f16 v64, 0x3a95, v37, v67 op_sel:[0,0,1] op_sel_hi:[0,1,0] neg_lo:[0,1,0] neg_hi:[0,1,0]
	v_add_f16_sdwa v16, v66, v16 dst_sel:DWORD dst_unused:UNUSED_PAD src0_sel:WORD_1 src1_sel:DWORD
	v_mul_f16_e32 v22, 0xbb7b, v47
	v_pk_add_f16 v63, v65, v63
	v_pk_fma_f16 v65, 0xbb7b, v42, v68 op_sel:[0,0,1] op_sel_hi:[0,1,0]
	v_pk_mul_f16 v66, 0x2fb7, v48 op_sel_hi:[0,1]
	v_add_f16_e32 v23, v64, v23
	v_pk_fma_f16 v67, 0xbb7b, v42, v68 op_sel:[0,0,1] op_sel_hi:[0,1,0] neg_lo:[0,1,0] neg_hi:[0,1,0]
	v_add_f16_sdwa v16, v64, v16 dst_sel:DWORD dst_unused:UNUSED_PAD src0_sel:WORD_1 src1_sel:DWORD
	v_add_f16_e32 v20, v20, v62
	v_fmamk_f16 v62, v61, 0xb5ac, v22
	v_fma_f16 v22, v61, 0xb5ac, -v22
	v_pk_add_f16 v61, v65, v63
	v_pk_fma_f16 v63, 0x3bf1, v47, v66 op_sel:[0,0,1] op_sel_hi:[0,1,0]
	v_add_f16_e32 v64, v67, v23
	v_pk_fma_f16 v65, 0x3bf1, v47, v66 op_sel:[0,0,1] op_sel_hi:[0,1,0] neg_lo:[0,1,0] neg_hi:[0,1,0]
	v_add_f16_sdwa v16, v67, v16 dst_sel:DWORD dst_unused:UNUSED_PAD src0_sel:WORD_1 src1_sel:DWORD
	v_add_f16_e32 v23, v62, v25
	v_add_f16_e32 v22, v22, v24
	v_pk_add_f16 v24, v63, v61
	v_add_f16_e32 v25, v65, v64
	v_add_f16_sdwa v16, v65, v16 dst_sel:DWORD dst_unused:UNUSED_PAD src0_sel:WORD_1 src1_sel:DWORD
	v_cmpx_gt_u32_e32 0x6e, v3
	s_cbranch_execz .LBB0_15
; %bb.14:
	v_mul_f16_e32 v61, 0xba95, v36
	v_mul_f16_e32 v62, 0x3b15, v39
	;; [unrolled: 1-line block ×5, first 2 shown]
	v_sub_f16_e32 v52, v52, v61
	v_mul_f16_e32 v61, 0x388b, v33
	v_mul_f16_e32 v33, 0xb5ac, v33
	v_add_f16_e32 v26, v39, v26
	v_mul_f16_e32 v35, 0xba95, v35
	v_sub_f16_e32 v36, v50, v36
	v_add_f16_e32 v17, v62, v17
	v_mul_f16_e32 v64, 0xb3a8, v32
	v_sub_f16_e32 v53, v53, v63
	v_add_f16_sdwa v52, v13, v52 dst_sel:DWORD dst_unused:UNUSED_PAD src0_sel:WORD_1 src1_sel:DWORD
	v_mul_f16_e32 v63, 0x2fb7, v31
	v_mul_f16_e32 v31, 0xbbc4, v31
	v_add_f16_e32 v26, v13, v26
	v_add_f16_e32 v29, v33, v29
	v_mul_f16_e32 v32, 0xbbf1, v32
	v_add_f16_sdwa v33, v13, v36 dst_sel:DWORD dst_unused:UNUSED_PAD src0_sel:WORD_1 src1_sel:DWORD
	v_sub_f16_e32 v35, v49, v35
	v_add_f16_e32 v13, v13, v17
	v_add_f16_e32 v17, v61, v27
	v_mul_f16_e32 v65, 0x394e, v37
	v_sub_f16_e32 v55, v55, v64
	v_add_f16_e32 v52, v53, v52
	v_mul_f16_e32 v53, 0xb5ac, v41
	v_mul_f16_e32 v41, 0xb9fd, v41
	v_add_f16_e32 v26, v29, v26
	v_add_f16_e32 v27, v31, v30
	v_mul_f16_e32 v37, 0xbb7b, v37
	v_add_f16_e32 v29, v35, v33
	v_sub_f16_e32 v30, v51, v32
	v_add_f16_e32 v13, v17, v13
	v_add_f16_e32 v17, v63, v28
	v_sub_f16_e32 v57, v57, v65
	v_add_f16_e32 v52, v55, v52
	v_mul_f16_e32 v55, 0x3bf1, v42
	v_mul_f16_e32 v64, 0xb9fd, v43
	;; [unrolled: 1-line block ×3, first 2 shown]
	v_add_f16_e32 v26, v27, v26
	v_add_f16_e32 v27, v41, v38
	v_mul_f16_e32 v42, 0xb94e, v42
	v_add_f16_e32 v28, v30, v29
	v_sub_f16_e32 v29, v54, v37
	v_add_f16_e32 v13, v17, v13
	v_add_f16_e32 v17, v53, v34
	v_add_f16_e32 v52, v57, v52
	v_sub_f16_e32 v55, v59, v55
	v_mul_f16_e32 v57, 0x3770, v47
	v_mul_f16_e32 v39, 0x3b15, v48
	v_add_f16_e32 v26, v27, v26
	v_add_f16_e32 v27, v43, v45
	v_mul_f16_e32 v59, 0xbbc4, v48
	v_mul_f16_e32 v47, 0xb3a8, v47
	v_add_f16_e32 v28, v29, v28
	v_sub_f16_e32 v29, v56, v42
	v_add_f16_e32 v13, v17, v13
	v_add_f16_e32 v17, v64, v40
	v_add_f16_e32 v52, v55, v52
	v_sub_f16_e32 v55, v60, v57
	v_add_f16_e32 v26, v27, v26
	v_add_f16_e32 v27, v39, v46
	v_add_f16_e32 v28, v29, v28
	v_sub_f16_e32 v29, v58, v47
	v_add_f16_e32 v13, v17, v13
	v_add_f16_e32 v17, v59, v44
	v_mad_u32_u24 v30, v3, 48, v0
	v_perm_b32 v31, v4, v8, 0x5040100
	v_perm_b32 v32, v18, v9, 0x5040100
	v_add_f16_e32 v48, v55, v52
	v_add_f16_e32 v26, v27, v26
	;; [unrolled: 1-line block ×4, first 2 shown]
	v_perm_b32 v17, v23, v12, 0x5040100
	v_perm_b32 v28, v20, v11, 0x5040100
	ds_write2_b32 v30, v7, v31 offset1:1
	ds_write2_b32 v30, v32, v10 offset0:2 offset1:3
	v_perm_b32 v29, v24, v16, 0x5040100
	v_alignbit_b32 v31, v25, v24, 16
	v_perm_b32 v32, v21, v15, 0x5040100
	v_perm_b32 v33, v22, v14, 0x5040100
	v_pack_b32_f16 v26, v26, v48
	v_pack_b32_f16 v13, v13, v27
	ds_write2_b32 v30, v28, v17 offset0:4 offset1:5
	ds_write2_b32 v30, v29, v31 offset0:6 offset1:7
	;; [unrolled: 1-line block ×4, first 2 shown]
	ds_write_b32 v30, v13 offset:48
.LBB0_15:
	s_or_b32 exec_lo, exec_lo, s1
	v_cmp_gt_u32_e64 s0, 0x82, v3
	v_lshrrev_b32_e32 v33, 16, v10
	v_lshrrev_b32_e32 v17, 16, v24
	s_waitcnt lgkmcnt(0)
	s_barrier
	buffer_gl0_inv
	s_and_saveexec_b32 s1, s0
	s_cbranch_execz .LBB0_17
; %bb.16:
	v_add_nc_u32_e32 v4, 0x1000, v0
	v_add_nc_u32_e32 v9, 0x400, v0
	;; [unrolled: 1-line block ×3, first 2 shown]
	ds_read2_b32 v[7:8], v0 offset1:130
	ds_read2_b32 v[14:15], v4 offset0:16 offset1:146
	v_add_nc_u32_e32 v4, 0xc00, v0
	ds_read2_b32 v[9:10], v9 offset0:4 offset1:134
	ds_read2_b32 v[11:12], v11 offset0:8 offset1:138
	;; [unrolled: 1-line block ×3, first 2 shown]
	ds_read_b32 v19, v0 offset:5200
	s_waitcnt lgkmcnt(5)
	v_lshrrev_b32_e32 v4, 16, v8
	s_waitcnt lgkmcnt(4)
	v_lshrrev_b32_e32 v22, 16, v14
	v_lshrrev_b32_e32 v21, 16, v15
	s_waitcnt lgkmcnt(3)
	v_lshrrev_b32_e32 v18, 16, v9
	;; [unrolled: 3-line block ×4, first 2 shown]
	v_lshrrev_b32_e32 v25, 16, v17
.LBB0_17:
	s_or_b32 exec_lo, exec_lo, s1
	s_waitcnt lgkmcnt(0)
	s_barrier
	buffer_gl0_inv
	s_and_saveexec_b32 s1, s0
	s_cbranch_execz .LBB0_19
; %bb.18:
	v_and_b32_e32 v13, 0xff, v3
	v_mov_b32_e32 v27, 10
	v_lshrrev_b32_e32 v44, 16, v19
	v_mov_b32_e32 v28, 2
	v_mul_lo_u16 v13, 0x4f, v13
	v_lshrrev_b16 v13, 10, v13
	v_mul_lo_u16 v26, v13, 13
	v_sub_nc_u16 v26, v3, v26
	v_mul_u32_u24_sdwa v27, v26, v27 dst_sel:DWORD dst_unused:UNUSED_PAD src0_sel:BYTE_0 src1_sel:DWORD
	v_lshlrev_b32_sdwa v26, v28, v26 dst_sel:DWORD dst_unused:UNUSED_PAD src0_sel:DWORD src1_sel:BYTE_0
	v_lshlrev_b32_e32 v27, 2, v27
	s_clause 0x2
	global_load_dwordx2 v[42:43], v27, s[12:13] offset:32
	global_load_dwordx4 v[34:37], v27, s[12:13]
	global_load_dwordx4 v[38:41], v27, s[12:13] offset:16
	v_mov_b32_e32 v27, 0x23c
	v_mul_u32_u24_sdwa v13, v13, v27 dst_sel:DWORD dst_unused:UNUSED_PAD src0_sel:WORD_0 src1_sel:DWORD
	v_add3_u32 v13, 0, v13, v26
	s_waitcnt vmcnt(2)
	v_mul_f16_sdwa v47, v44, v43 dst_sel:DWORD dst_unused:UNUSED_PAD src0_sel:DWORD src1_sel:WORD_1
	s_waitcnt vmcnt(1)
	v_mul_f16_sdwa v45, v8, v34 dst_sel:DWORD dst_unused:UNUSED_PAD src0_sel:DWORD src1_sel:WORD_1
	v_mul_f16_sdwa v46, v4, v34 dst_sel:DWORD dst_unused:UNUSED_PAD src0_sel:DWORD src1_sel:WORD_1
	v_mul_f16_sdwa v48, v9, v35 dst_sel:DWORD dst_unused:UNUSED_PAD src0_sel:DWORD src1_sel:WORD_1
	v_mul_f16_sdwa v49, v18, v35 dst_sel:DWORD dst_unused:UNUSED_PAD src0_sel:DWORD src1_sel:WORD_1
	v_mul_f16_sdwa v50, v21, v42 dst_sel:DWORD dst_unused:UNUSED_PAD src0_sel:DWORD src1_sel:WORD_1
	v_mul_f16_sdwa v52, v33, v36 dst_sel:DWORD dst_unused:UNUSED_PAD src0_sel:DWORD src1_sel:WORD_1
	s_waitcnt vmcnt(0)
	v_mul_f16_sdwa v53, v22, v41 dst_sel:DWORD dst_unused:UNUSED_PAD src0_sel:DWORD src1_sel:WORD_1
	v_mul_f16_sdwa v32, v11, v37 dst_sel:DWORD dst_unused:UNUSED_PAD src0_sel:DWORD src1_sel:WORD_1
	v_mul_f16_sdwa v54, v20, v37 dst_sel:DWORD dst_unused:UNUSED_PAD src0_sel:DWORD src1_sel:WORD_1
	v_mul_f16_sdwa v55, v25, v40 dst_sel:DWORD dst_unused:UNUSED_PAD src0_sel:DWORD src1_sel:WORD_1
	v_fmac_f16_e32 v45, v4, v34
	v_fma_f16 v34, v8, v34, -v46
	v_fma_f16 v4, v19, v43, -v47
	v_mul_f16_sdwa v26, v19, v43 dst_sel:DWORD dst_unused:UNUSED_PAD src0_sel:DWORD src1_sel:WORD_1
	v_mul_f16_sdwa v27, v15, v42 dst_sel:DWORD dst_unused:UNUSED_PAD src0_sel:DWORD src1_sel:WORD_1
	;; [unrolled: 1-line block ×7, first 2 shown]
	v_fmac_f16_e32 v48, v18, v35
	v_fma_f16 v18, v9, v35, -v49
	v_fma_f16 v8, v15, v42, -v50
	;; [unrolled: 1-line block ×4, first 2 shown]
	v_fmac_f16_e32 v32, v20, v37
	v_fma_f16 v14, v11, v37, -v54
	v_fma_f16 v10, v17, v40, -v55
	v_sub_f16_e32 v17, v34, v4
	v_add_f16_e32 v35, v34, v4
	v_add_f16_e32 v34, v7, v34
	v_add_f16_sdwa v37, v7, v45 dst_sel:DWORD dst_unused:UNUSED_PAD src0_sel:WORD_1 src1_sel:DWORD
	v_mul_f16_sdwa v31, v12, v38 dst_sel:DWORD dst_unused:UNUSED_PAD src0_sel:DWORD src1_sel:WORD_1
	v_mul_f16_sdwa v56, v23, v38 dst_sel:DWORD dst_unused:UNUSED_PAD src0_sel:DWORD src1_sel:WORD_1
	v_fmac_f16_e32 v26, v44, v43
	v_fmac_f16_e32 v27, v21, v42
	;; [unrolled: 1-line block ×4, first 2 shown]
	v_fma_f16 v11, v16, v39, -v57
	v_sub_f16_e32 v20, v18, v8
	v_add_f16_e32 v39, v18, v8
	v_add_f16_e32 v37, v37, v48
	;; [unrolled: 1-line block ×3, first 2 shown]
	v_fmac_f16_e32 v28, v22, v41
	v_fmac_f16_e32 v29, v25, v40
	;; [unrolled: 1-line block ×3, first 2 shown]
	v_fma_f16 v12, v12, v38, -v56
	v_add_f16_e32 v16, v45, v26
	v_add_f16_e32 v19, v48, v27
	v_sub_f16_e32 v36, v45, v26
	v_sub_f16_e32 v22, v15, v9
	v_add_f16_e32 v41, v15, v9
	v_add_f16_e32 v37, v37, v51
	;; [unrolled: 1-line block ×5, first 2 shown]
	v_sub_f16_e32 v24, v14, v10
	v_add_f16_e32 v25, v31, v30
	v_sub_f16_e32 v33, v12, v11
	v_sub_f16_e32 v38, v48, v27
	;; [unrolled: 1-line block ×5, first 2 shown]
	v_mul_f16_e32 v46, 0xbbad, v16
	v_mul_f16_e32 v47, 0x3abb, v19
	v_mul_f16_e32 v52, 0xb482, v36
	v_mul_f16_e32 v53, 0xba0c, v17
	v_mul_f16_e32 v57, 0xba0c, v36
	v_mul_f16_e32 v58, 0xbbeb, v17
	v_mul_f16_e32 v62, 0xbbeb, v36
	v_mul_f16_e32 v63, 0xbb47, v17
	v_mul_f16_e32 v67, 0xbb47, v36
	v_add_f16_e32 v43, v14, v10
	v_mul_f16_e32 v68, 0xb853, v17
	v_mul_f16_e32 v36, 0xb853, v36
	v_add_f16_e32 v14, v15, v14
	v_add_f16_e32 v15, v37, v32
	;; [unrolled: 1-line block ×3, first 2 shown]
	v_mul_f16_e32 v49, 0xb93d, v21
	v_mul_f16_e32 v50, 0x36a6, v23
	;; [unrolled: 1-line block ×39, first 2 shown]
	v_fmamk_f16 v91, v17, 0x3482, v46
	v_fmamk_f16 v92, v20, 0xb853, v47
	;; [unrolled: 1-line block ×3, first 2 shown]
	v_fmac_f16_e32 v46, 0xb482, v17
	v_fmac_f16_e32 v47, 0x3853, v20
	v_fma_f16 v17, v35, 0xbbad, -v52
	v_fmamk_f16 v20, v16, 0xb93d, v53
	v_fma_f16 v96, v35, 0xb93d, -v57
	v_fmamk_f16 v97, v16, 0xb08e, v58
	;; [unrolled: 2-line block ×3, first 2 shown]
	v_fma_f16 v104, v35, 0x36a6, -v67
	v_fma_f16 v53, v16, 0xb93d, -v53
	v_fmac_f16_e32 v57, 0xb93d, v35
	v_fma_f16 v58, v16, 0xb08e, -v58
	v_fma_f16 v63, v16, 0x36a6, -v63
	v_fmac_f16_e32 v62, 0xb08e, v35
	v_fmac_f16_e32 v67, 0x36a6, v35
	v_fmamk_f16 v105, v16, 0x3abb, v68
	v_fma_f16 v16, v16, 0x3abb, -v68
	v_fma_f16 v68, v35, 0x3abb, -v36
	v_add_f16_e32 v12, v14, v12
	v_add_f16_e32 v14, v15, v31
	v_fmamk_f16 v93, v22, 0x3a0c, v49
	v_fmamk_f16 v94, v24, 0xbb47, v50
	v_fmac_f16_e32 v49, 0xba0c, v22
	v_fmac_f16_e32 v50, 0x3b47, v24
	v_fmamk_f16 v22, v19, 0xb08e, v54
	v_fmamk_f16 v24, v21, 0x3abb, v55
	;; [unrolled: 1-line block ×7, first 2 shown]
	v_fmac_f16_e32 v36, 0x3abb, v35
	v_fmamk_f16 v35, v21, 0xbbad, v65
	v_fmamk_f16 v106, v23, 0xb08e, v66
	;; [unrolled: 1-line block ×3, first 2 shown]
	v_fma_f16 v54, v19, 0xb08e, -v54
	v_fma_f16 v59, v19, 0xbbad, -v59
	v_fma_f16 v64, v19, 0xb93d, -v64
	v_fma_f16 v19, v19, 0x36a6, -v69
	v_fmamk_f16 v69, v21, 0xb08e, v70
	v_fma_f16 v55, v21, 0x3abb, -v55
	v_fma_f16 v60, v21, 0x36a6, -v60
	v_fma_f16 v65, v21, 0xbbad, -v65
	v_fma_f16 v21, v21, 0xb08e, -v70
	v_fmamk_f16 v70, v23, 0xb93d, v71
	v_fma_f16 v56, v23, 0xbbad, -v56
	v_fma_f16 v61, v23, 0x3abb, -v61
	v_fma_f16 v66, v23, 0xb08e, -v66
	v_fma_f16 v23, v23, 0xb93d, -v71
	v_fmamk_f16 v71, v33, 0x3beb, v72
	v_fmac_f16_e32 v72, 0xbbeb, v33
	v_fmamk_f16 v33, v25, 0x36a6, v73
	v_fma_f16 v73, v25, 0x36a6, -v73
	v_fmamk_f16 v108, v25, 0xb93d, v74
	v_fma_f16 v74, v25, 0xb93d, -v74
	;; [unrolled: 2-line block ×5, first 2 shown]
	v_fma_f16 v111, v39, 0xb08e, -v48
	v_fmac_f16_e32 v48, 0xb08e, v39
	v_fma_f16 v112, v39, 0xbbad, -v77
	v_fmac_f16_e32 v77, 0xbbad, v39
	v_fma_f16 v113, v39, 0xb93d, -v78
	v_fmac_f16_e32 v78, 0xb93d, v39
	v_fma_f16 v114, v39, 0x36a6, -v38
	v_fmac_f16_e32 v38, 0x36a6, v39
	v_fmamk_f16 v18, v41, 0xb93d, v79
	v_fma_f16 v39, v41, 0xb93d, -v79
	v_fma_f16 v51, v41, 0x3abb, -v80
	v_fmac_f16_e32 v80, 0x3abb, v41
	v_fma_f16 v79, v41, 0x36a6, -v81
	v_fmac_f16_e32 v81, 0x36a6, v41
	v_fma_f16 v115, v41, 0xbbad, -v82
	v_fmac_f16_e32 v82, 0xbbad, v41
	v_fma_f16 v116, v41, 0xb08e, -v40
	v_fmac_f16_e32 v40, 0xb08e, v41
	v_fmamk_f16 v41, v43, 0x36a6, v83
	v_fma_f16 v83, v43, 0x36a6, -v83
	;; [unrolled: 10-line block ×3, first 2 shown]
	v_fma_f16 v121, v45, 0x36a6, -v88
	v_fmac_f16_e32 v88, 0x36a6, v45
	v_fma_f16 v122, v45, 0xb93d, -v89
	v_fmac_f16_e32 v89, 0xb93d, v45
	;; [unrolled: 2-line block ×4, first 2 shown]
	v_add_f16_sdwa v45, v7, v91 dst_sel:DWORD dst_unused:UNUSED_PAD src0_sel:WORD_1 src1_sel:DWORD
	v_add_f16_e32 v91, v7, v95
	v_add_f16_sdwa v46, v7, v46 dst_sel:DWORD dst_unused:UNUSED_PAD src0_sel:WORD_1 src1_sel:DWORD
	v_add_f16_e32 v17, v7, v17
	;; [unrolled: 2-line block ×9, first 2 shown]
	v_add_f16_e32 v11, v12, v11
	v_add_f16_e32 v12, v14, v30
	v_add_f16_sdwa v16, v7, v16 dst_sel:DWORD dst_unused:UNUSED_PAD src0_sel:WORD_1 src1_sel:DWORD
	v_add_f16_e32 v7, v7, v36
	v_add_f16_e32 v32, v92, v45
	;; [unrolled: 1-line block ×89, first 2 shown]
	v_pack_b32_f16 v25, v33, v32
	v_pack_b32_f16 v23, v24, v23
	;; [unrolled: 1-line block ×11, first 2 shown]
	ds_write2_b32 v13, v25, v23 offset0:26 offset1:39
	ds_write2_b32 v13, v20, v17 offset0:52 offset1:65
	;; [unrolled: 1-line block ×4, first 2 shown]
	ds_write2_b32 v13, v4, v10 offset1:13
	ds_write_b32 v13, v7 offset:520
.LBB0_19:
	s_or_b32 exec_lo, exec_lo, s1
	v_mul_u32_u24_e32 v4, 9, v3
	s_load_dwordx2 s[2:3], s[2:3], 0x0
	s_waitcnt lgkmcnt(0)
	s_barrier
	buffer_gl0_inv
	v_lshlrev_b32_e32 v4, 2, v4
	v_add_nc_u32_e32 v25, 0xc00, v0
	v_add_nc_u32_e32 v26, 0x1100, v0
	v_add_nc_u32_e32 v27, 0x400, v0
	v_add_nc_u32_e32 v28, 0x800, v0
	s_clause 0x2
	global_load_dwordx4 v[7:10], v4, s[12:13] offset:520
	global_load_dwordx4 v[11:14], v4, s[12:13] offset:536
	global_load_dword v4, v4, s[12:13] offset:552
	ds_read2_b32 v[15:16], v0 offset1:143
	ds_read2_b32 v[17:18], v25 offset0:90 offset1:233
	ds_read2_b32 v[19:20], v26 offset0:56 offset1:199
	;; [unrolled: 1-line block ×4, first 2 shown]
	s_waitcnt vmcnt(0) lgkmcnt(0)
	s_barrier
	buffer_gl0_inv
	s_add_u32 s1, s12, 0x1624
	s_addc_u32 s4, s13, 0
	s_mov_b32 s5, exec_lo
	v_lshrrev_b32_e32 v33, 16, v19
	v_lshrrev_b32_e32 v30, 16, v16
	v_lshrrev_b32_e32 v31, 16, v17
	v_lshrrev_b32_e32 v32, 16, v18
	v_lshrrev_b32_e32 v35, 16, v21
	v_lshrrev_b32_e32 v36, 16, v22
	v_lshrrev_b32_e32 v37, 16, v23
	v_lshrrev_b32_e32 v38, 16, v24
	v_lshrrev_b32_e32 v34, 16, v20
	v_lshrrev_b32_e32 v29, 16, v15
	v_mul_f16_sdwa v39, v7, v30 dst_sel:DWORD dst_unused:UNUSED_PAD src0_sel:WORD_1 src1_sel:DWORD
	v_mul_f16_sdwa v40, v7, v16 dst_sel:DWORD dst_unused:UNUSED_PAD src0_sel:WORD_1 src1_sel:DWORD
	;; [unrolled: 1-line block ×10, first 2 shown]
	v_mul_f16_sdwa v49, v31, v12 dst_sel:DWORD dst_unused:UNUSED_PAD src0_sel:DWORD src1_sel:WORD_1
	v_mul_f16_sdwa v50, v17, v12 dst_sel:DWORD dst_unused:UNUSED_PAD src0_sel:DWORD src1_sel:WORD_1
	;; [unrolled: 1-line block ×8, first 2 shown]
	v_fma_f16 v16, v7, v16, -v39
	v_fmac_f16_e32 v40, v7, v30
	v_fma_f16 v7, v8, v21, -v41
	v_fmac_f16_e32 v42, v8, v35
	v_fma_f16 v8, v9, v22, -v43
	v_fmac_f16_e32 v44, v9, v36
	v_fma_f16 v9, v10, v23, -v45
	v_fmac_f16_e32 v46, v10, v37
	v_fma_f16 v10, v11, v24, -v47
	v_fmac_f16_e32 v48, v11, v38
	v_fma_f16 v11, v17, v12, -v49
	v_fmac_f16_e32 v50, v31, v12
	v_fma_f16 v12, v18, v13, -v51
	v_fmac_f16_e32 v52, v32, v13
	v_fma_f16 v13, v19, v14, -v53
	v_fmac_f16_e32 v54, v33, v14
	v_fma_f16 v14, v20, v4, -v55
	v_fmac_f16_e32 v56, v34, v4
	v_add_f16_e32 v4, v15, v7
	v_add_f16_e32 v17, v9, v11
	v_sub_f16_e32 v20, v7, v9
	v_sub_f16_e32 v21, v13, v11
	v_add_f16_e32 v22, v7, v13
	v_add_f16_e32 v30, v29, v42
	;; [unrolled: 1-line block ×9, first 2 shown]
	v_sub_f16_e32 v23, v9, v7
	v_sub_f16_e32 v24, v11, v13
	;; [unrolled: 1-line block ×9, first 2 shown]
	v_add_f16_e32 v53, v40, v44
	v_sub_f16_e32 v8, v8, v14
	v_sub_f16_e32 v57, v10, v12
	v_add_f16_e32 v4, v4, v9
	v_fma_f16 v9, -0.5, v17, v15
	v_add_f16_e32 v17, v20, v21
	v_fmac_f16_e32 v15, -0.5, v22
	v_add_f16_e32 v21, v30, v46
	v_fma_f16 v22, -0.5, v31, v29
	v_fmac_f16_e32 v29, -0.5, v35
	v_add_f16_e32 v10, v38, v10
	v_fma_f16 v30, -0.5, v39, v16
	v_fma_f16 v35, -0.5, v55, v40
	v_sub_f16_e32 v18, v42, v54
	v_sub_f16_e32 v36, v46, v42
	;; [unrolled: 1-line block ×7, first 2 shown]
	v_fmac_f16_e32 v16, -0.5, v47
	v_fmac_f16_e32 v40, -0.5, v60
	v_sub_f16_e32 v51, v12, v14
	v_sub_f16_e32 v59, v56, v52
	v_add_f16_e32 v20, v23, v24
	v_add_f16_e32 v23, v33, v34
	;; [unrolled: 1-line block ×5, first 2 shown]
	v_fmamk_f16 v12, v41, 0x3b9c, v30
	v_fmamk_f16 v45, v8, 0xbb9c, v35
	v_sub_f16_e32 v19, v46, v50
	v_add_f16_e32 v24, v36, v37
	v_add_f16_e32 v37, v44, v61
	v_fmamk_f16 v44, v42, 0xbb9c, v16
	v_fmac_f16_e32 v16, 0x3b9c, v42
	v_fmamk_f16 v46, v57, 0x3b9c, v40
	v_fmac_f16_e32 v40, 0xbb9c, v57
	v_sub_f16_e32 v7, v7, v13
	v_fmac_f16_e32 v30, 0xbb9c, v41
	v_fmac_f16_e32 v35, 0x3b9c, v8
	v_add_f16_e32 v36, v58, v59
	v_add_f16_e32 v4, v4, v11
	;; [unrolled: 1-line block ×3, first 2 shown]
	v_fmamk_f16 v43, v32, 0x3b9c, v29
	v_fmac_f16_e32 v29, 0xbb9c, v32
	v_add_f16_e32 v34, v34, v52
	v_fmac_f16_e32 v12, 0x38b4, v42
	v_fmac_f16_e32 v45, 0xb8b4, v57
	v_add_f16_e32 v33, v49, v51
	v_fmamk_f16 v11, v18, 0x3b9c, v9
	v_fmac_f16_e32 v9, 0xbb9c, v18
	v_fmamk_f16 v38, v19, 0xbb9c, v15
	v_fmac_f16_e32 v15, 0x3b9c, v19
	v_fmac_f16_e32 v44, 0x38b4, v41
	;; [unrolled: 1-line block ×5, first 2 shown]
	v_fmamk_f16 v39, v7, 0xbb9c, v22
	v_fmac_f16_e32 v22, 0x3b9c, v7
	v_fmac_f16_e32 v30, 0xb8b4, v42
	;; [unrolled: 1-line block ×3, first 2 shown]
	v_add_f16_e32 v4, v4, v13
	v_add_f16_e32 v13, v21, v54
	v_fmac_f16_e32 v43, 0xb8b4, v7
	v_fmac_f16_e32 v29, 0x38b4, v7
	v_add_f16_e32 v7, v10, v14
	v_add_f16_e32 v10, v34, v56
	v_fmac_f16_e32 v12, 0x34f2, v31
	v_fmac_f16_e32 v45, 0x34f2, v36
	;; [unrolled: 1-line block ×14, first 2 shown]
	v_add_f16_e32 v8, v4, v7
	v_add_f16_e32 v14, v13, v10
	v_sub_f16_e32 v4, v4, v7
	v_sub_f16_e32 v7, v13, v10
	v_mul_f16_e32 v10, 0x38b4, v45
	v_mul_f16_e32 v19, 0xb8b4, v12
	v_fmac_f16_e32 v11, 0x34f2, v17
	v_fmac_f16_e32 v9, 0x34f2, v17
	;; [unrolled: 1-line block ×4, first 2 shown]
	v_mul_f16_e32 v13, 0x3b9c, v46
	v_mul_f16_e32 v17, 0x34f2, v16
	;; [unrolled: 1-line block ×4, first 2 shown]
	v_fmac_f16_e32 v39, 0x34f2, v23
	v_fmac_f16_e32 v22, 0x34f2, v23
	v_mul_f16_e32 v18, 0x3a79, v30
	v_mul_f16_e32 v23, 0x3a79, v35
	v_fmac_f16_e32 v10, 0x3a79, v12
	v_fmac_f16_e32 v19, 0x3a79, v45
	;; [unrolled: 1-line block ×4, first 2 shown]
	v_pack_b32_f16 v8, v8, v14
	v_pack_b32_f16 v4, v4, v7
	v_fmac_f16_e32 v13, 0x34f2, v44
	v_fma_f16 v7, v40, 0x3b9c, -v17
	v_fmac_f16_e32 v20, 0x34f2, v46
	v_fma_f16 v14, v16, 0xbb9c, -v21
	v_fma_f16 v12, v35, 0x38b4, -v18
	;; [unrolled: 1-line block ×3, first 2 shown]
	v_add_f16_e32 v17, v11, v10
	v_add_f16_e32 v24, v39, v19
	;; [unrolled: 1-line block ×8, first 2 shown]
	v_sub_f16_e32 v10, v11, v10
	v_sub_f16_e32 v11, v38, v13
	;; [unrolled: 1-line block ×8, first 2 shown]
	v_pack_b32_f16 v16, v17, v24
	v_pack_b32_f16 v17, v18, v30
	;; [unrolled: 1-line block ×8, first 2 shown]
	ds_write2_b32 v0, v8, v16 offset1:143
	ds_write2_b32 v27, v17, v18 offset0:30 offset1:173
	ds_write2_b32 v28, v19, v4 offset0:60 offset1:203
	ds_write2_b32 v25, v10, v11 offset0:90 offset1:233
	ds_write2_b32 v26, v7, v9 offset0:56 offset1:199
	s_waitcnt lgkmcnt(0)
	s_barrier
	buffer_gl0_inv
	ds_read_b32 v13, v0
	v_lshlrev_b32_e32 v4, 2, v3
                                        ; implicit-def: $vgpr12
                                        ; implicit-def: $vgpr11
                                        ; implicit-def: $vgpr10
                                        ; implicit-def: $vgpr7_vgpr8
	v_sub_nc_u32_e32 v9, 0, v4
	v_cmpx_ne_u32_e32 0, v3
	s_xor_b32 s5, exec_lo, s5
	s_cbranch_execz .LBB0_21
; %bb.20:
	v_mov_b32_e32 v4, 0
	v_lshlrev_b64 v[7:8], 2, v[3:4]
	v_add_co_u32 v7, s0, s1, v7
	v_add_co_ci_u32_e64 v8, s0, s4, v8, s0
	global_load_dword v7, v[7:8], off
	ds_read_b32 v8, v9 offset:5720
	s_waitcnt lgkmcnt(0)
	v_pk_add_f16 v10, v13, v8 neg_lo:[0,1] neg_hi:[0,1]
	v_pk_add_f16 v8, v8, v13
                                        ; implicit-def: $vgpr13
	v_bfi_b32 v11, 0xffff, v10, v8
	v_bfi_b32 v8, 0xffff, v8, v10
	v_pk_mul_f16 v11, v11, 0.5 op_sel_hi:[1,0]
	v_pk_mul_f16 v12, v8, 0.5 op_sel_hi:[1,0]
	s_waitcnt vmcnt(0)
	v_pk_mul_f16 v10, v7, v11 op_sel:[1,0]
	v_pk_mul_f16 v7, v7, v11 op_sel_hi:[0,1]
	v_pk_fma_f16 v8, v8, 0.5, v10 op_sel_hi:[1,0,1]
	v_sub_f16_e32 v11, v12, v10
	v_sub_f16_sdwa v10, v10, v12 dst_sel:DWORD dst_unused:UNUSED_PAD src0_sel:WORD_1 src1_sel:WORD_1
	v_pk_add_f16 v12, v8, v7 op_sel:[0,1] op_sel_hi:[1,0]
	v_pk_add_f16 v8, v8, v7 op_sel:[0,1] op_sel_hi:[1,0] neg_lo:[0,1] neg_hi:[0,1]
	v_sub_f16_sdwa v11, v11, v7 dst_sel:DWORD dst_unused:UNUSED_PAD src0_sel:DWORD src1_sel:WORD_1
	v_sub_f16_e32 v10, v10, v7
	v_bfi_b32 v12, 0xffff, v12, v8
	v_mov_b32_e32 v8, v4
	v_mov_b32_e32 v7, v3
.LBB0_21:
	s_andn2_saveexec_b32 s0, s5
	s_cbranch_execz .LBB0_23
; %bb.22:
	v_mov_b32_e32 v10, 0
	s_waitcnt lgkmcnt(0)
	v_alignbit_b32 v7, s0, v13, 16
	v_sub_f16_sdwa v11, v13, v13 dst_sel:DWORD dst_unused:UNUSED_PAD src0_sel:DWORD src1_sel:WORD_1
	ds_read_u16 v4, v10 offset:2862
	v_pk_add_f16 v12, v7, v13
	v_mov_b32_e32 v7, 0
	v_mov_b32_e32 v8, 0
	v_pack_b32_f16 v12, v12, 0
	s_waitcnt lgkmcnt(0)
	v_xor_b32_e32 v4, 0x8000, v4
	ds_write_b16 v10, v4 offset:2862
.LBB0_23:
	s_or_b32 exec_lo, exec_lo, s0
	v_lshlrev_b64 v[7:8], 2, v[7:8]
	v_add_co_u32 v7, s0, s1, v7
	v_add_co_ci_u32_e64 v8, s0, s4, v8, s0
	global_load_dword v4, v[7:8], off offset:572
	s_waitcnt lgkmcnt(0)
	s_clause 0x1
	global_load_dword v13, v[7:8], off offset:1144
	global_load_dword v14, v[7:8], off offset:1716
	v_add_co_u32 v7, s0, 0x800, v7
	v_add_co_ci_u32_e64 v8, s0, 0, v8, s0
	global_load_dword v7, v[7:8], off offset:240
	ds_write_b16 v9, v10 offset:5722
	ds_write_b32 v0, v12
	ds_write_b16 v9, v11 offset:5720
	ds_read_b32 v8, v0 offset:572
	ds_read_b32 v10, v9 offset:5148
	s_waitcnt lgkmcnt(0)
	v_pk_add_f16 v11, v8, v10 neg_lo:[0,1] neg_hi:[0,1]
	v_pk_add_f16 v8, v8, v10
	v_bfi_b32 v10, 0xffff, v11, v8
	v_bfi_b32 v8, 0xffff, v8, v11
	v_pk_mul_f16 v10, v10, 0.5 op_sel_hi:[1,0]
	v_pk_mul_f16 v12, v8, 0.5 op_sel_hi:[1,0]
	s_waitcnt vmcnt(3)
	v_pk_mul_f16 v11, v4, v10 op_sel:[1,0]
	v_pk_mul_f16 v4, v4, v10 op_sel_hi:[0,1]
	v_pk_fma_f16 v8, v8, 0.5, v11 op_sel_hi:[1,0,1]
	v_sub_f16_sdwa v10, v11, v12 dst_sel:DWORD dst_unused:UNUSED_PAD src0_sel:WORD_1 src1_sel:WORD_1
	v_sub_f16_e32 v11, v12, v11
	v_pk_add_f16 v15, v8, v4 op_sel:[0,1] op_sel_hi:[1,0]
	v_pk_add_f16 v8, v8, v4 op_sel:[0,1] op_sel_hi:[1,0] neg_lo:[0,1] neg_hi:[0,1]
	v_sub_f16_e32 v10, v10, v4
	v_sub_f16_sdwa v4, v11, v4 dst_sel:DWORD dst_unused:UNUSED_PAD src0_sel:DWORD src1_sel:WORD_1
	v_bfi_b32 v8, 0xffff, v15, v8
	ds_write_b16 v9, v10 offset:5150
	ds_write_b32 v0, v8 offset:572
	ds_write_b16 v9, v4 offset:5148
	ds_read_b32 v4, v0 offset:1144
	ds_read_b32 v8, v9 offset:4576
	s_waitcnt lgkmcnt(0)
	v_pk_add_f16 v10, v4, v8 neg_lo:[0,1] neg_hi:[0,1]
	v_pk_add_f16 v4, v4, v8
	v_bfi_b32 v8, 0xffff, v10, v4
	v_bfi_b32 v4, 0xffff, v4, v10
	v_pk_mul_f16 v8, v8, 0.5 op_sel_hi:[1,0]
	v_pk_mul_f16 v4, v4, 0.5 op_sel_hi:[1,0]
	s_waitcnt vmcnt(2)
	v_pk_mul_f16 v11, v13, v8 op_sel_hi:[0,1]
	v_pk_fma_f16 v10, v13, v8, v4 op_sel:[1,0,0]
	v_pk_fma_f16 v12, v13, v8, v4 op_sel:[1,0,0] neg_lo:[1,0,0] neg_hi:[1,0,0]
	v_pk_fma_f16 v4, v13, v8, v4 op_sel:[1,0,0] neg_lo:[0,0,1] neg_hi:[0,0,1]
	v_pk_add_f16 v8, v10, v11 op_sel:[0,1] op_sel_hi:[1,0]
	v_pk_add_f16 v10, v10, v11 op_sel:[0,1] op_sel_hi:[1,0] neg_lo:[0,1] neg_hi:[0,1]
	v_pk_add_f16 v12, v12, v11 op_sel:[0,1] op_sel_hi:[1,0] neg_lo:[0,1] neg_hi:[0,1]
	v_pk_add_f16 v4, v4, v11 op_sel:[0,1] op_sel_hi:[1,0] neg_lo:[0,1] neg_hi:[0,1]
	v_bfi_b32 v8, 0xffff, v8, v10
	v_bfi_b32 v4, 0xffff, v12, v4
	ds_write_b32 v0, v8 offset:1144
	ds_write_b32 v9, v4 offset:4576
	ds_read_b32 v4, v0 offset:1716
	ds_read_b32 v8, v9 offset:4004
	s_waitcnt lgkmcnt(0)
	v_pk_add_f16 v10, v4, v8 neg_lo:[0,1] neg_hi:[0,1]
	v_pk_add_f16 v4, v4, v8
	v_bfi_b32 v8, 0xffff, v10, v4
	v_bfi_b32 v4, 0xffff, v4, v10
	v_pk_mul_f16 v8, v8, 0.5 op_sel_hi:[1,0]
	v_pk_mul_f16 v4, v4, 0.5 op_sel_hi:[1,0]
	s_waitcnt vmcnt(1)
	v_pk_mul_f16 v11, v14, v8 op_sel_hi:[0,1]
	v_pk_fma_f16 v10, v14, v8, v4 op_sel:[1,0,0]
	v_pk_fma_f16 v12, v14, v8, v4 op_sel:[1,0,0] neg_lo:[1,0,0] neg_hi:[1,0,0]
	v_pk_fma_f16 v4, v14, v8, v4 op_sel:[1,0,0] neg_lo:[0,0,1] neg_hi:[0,0,1]
	v_pk_add_f16 v8, v10, v11 op_sel:[0,1] op_sel_hi:[1,0]
	v_pk_add_f16 v10, v10, v11 op_sel:[0,1] op_sel_hi:[1,0] neg_lo:[0,1] neg_hi:[0,1]
	v_pk_add_f16 v12, v12, v11 op_sel:[0,1] op_sel_hi:[1,0] neg_lo:[0,1] neg_hi:[0,1]
	v_pk_add_f16 v4, v4, v11 op_sel:[0,1] op_sel_hi:[1,0] neg_lo:[0,1] neg_hi:[0,1]
	v_bfi_b32 v8, 0xffff, v8, v10
	v_bfi_b32 v4, 0xffff, v12, v4
	ds_write_b32 v0, v8 offset:1716
	ds_write_b32 v9, v4 offset:4004
	;; [unrolled: 22-line block ×3, first 2 shown]
	s_waitcnt lgkmcnt(0)
	s_barrier
	buffer_gl0_inv
	s_and_saveexec_b32 s0, vcc_lo
	s_cbranch_execz .LBB0_26
; %bb.24:
	v_mul_lo_u32 v0, s3, v5
	v_mul_lo_u32 v7, s2, v6
	v_mad_u64_u32 v[5:6], null, s2, v5, 0
	v_lshl_add_u32 v17, v3, 2, 0
	v_mov_b32_e32 v4, 0
	v_add_nc_u32_e32 v9, 0x11e, v3
	v_add_nc_u32_e32 v15, 0x23c, v3
	ds_read2_b32 v[11:12], v17 offset1:143
	v_add3_u32 v6, v6, v7, v0
	v_lshlrev_b64 v[0:1], 2, v[1:2]
	v_add_nc_u32_e32 v7, 0x8f, v3
	v_mov_b32_e32 v8, v4
	v_lshlrev_b64 v[13:14], 2, v[3:4]
	v_lshlrev_b64 v[5:6], 2, v[5:6]
	v_mov_b32_e32 v10, v4
	v_mov_b32_e32 v16, v4
	v_lshlrev_b64 v[7:8], 2, v[7:8]
	v_add_co_u32 v2, vcc_lo, s10, v5
	v_add_co_ci_u32_e32 v5, vcc_lo, s11, v6, vcc_lo
	v_add_nc_u32_e32 v6, 0x400, v17
	v_add_co_u32 v0, vcc_lo, v2, v0
	v_add_co_ci_u32_e32 v1, vcc_lo, v5, v1, vcc_lo
	ds_read2_b32 v[5:6], v6 offset0:30 offset1:173
	v_add_co_u32 v13, vcc_lo, v0, v13
	v_lshlrev_b64 v[9:10], 2, v[9:10]
	v_add_co_ci_u32_e32 v14, vcc_lo, v1, v14, vcc_lo
	v_add_co_u32 v7, vcc_lo, v0, v7
	v_add_co_ci_u32_e32 v8, vcc_lo, v1, v8, vcc_lo
	v_add_co_u32 v9, vcc_lo, v0, v9
	v_add_co_ci_u32_e32 v10, vcc_lo, v1, v10, vcc_lo
	v_add_nc_u32_e32 v2, 0x800, v17
	s_waitcnt lgkmcnt(1)
	global_store_dword v[13:14], v11, off
	v_add_nc_u32_e32 v13, 0x1ad, v3
	v_mov_b32_e32 v14, v4
	global_store_dword v[7:8], v12, off
	s_waitcnt lgkmcnt(0)
	global_store_dword v[9:10], v5, off
	ds_read2_b32 v[9:10], v2 offset0:60 offset1:203
	v_lshlrev_b64 v[11:12], 2, v[15:16]
	v_lshlrev_b64 v[7:8], 2, v[13:14]
	v_add_nc_u32_e32 v13, 0x2cb, v3
	v_add_nc_u32_e32 v15, 0x35a, v3
	;; [unrolled: 1-line block ×3, first 2 shown]
	v_add_co_u32 v7, vcc_lo, v0, v7
	v_lshlrev_b64 v[13:14], 2, v[13:14]
	v_add_co_ci_u32_e32 v8, vcc_lo, v1, v8, vcc_lo
	v_add_co_u32 v11, vcc_lo, v0, v11
	v_add_co_ci_u32_e32 v12, vcc_lo, v1, v12, vcc_lo
	v_add_co_u32 v13, vcc_lo, v0, v13
	v_add_co_ci_u32_e32 v14, vcc_lo, v1, v14, vcc_lo
	global_store_dword v[7:8], v6, off
	s_waitcnt lgkmcnt(0)
	global_store_dword v[11:12], v9, off
	global_store_dword v[13:14], v10, off
	v_add_nc_u32_e32 v9, 0x3e9, v3
	v_mov_b32_e32 v10, v4
	ds_read2_b32 v[5:6], v2 offset0:90 offset1:233
	v_lshlrev_b64 v[7:8], 2, v[15:16]
	v_add_nc_u32_e32 v2, 0x1100, v17
	v_add_nc_u32_e32 v11, 0x478, v3
	v_mov_b32_e32 v12, v4
	v_lshlrev_b64 v[9:10], 2, v[9:10]
	v_add_nc_u32_e32 v15, 0x507, v3
	ds_read2_b32 v[13:14], v2 offset0:56 offset1:199
	v_add_co_u32 v7, vcc_lo, v0, v7
	v_lshlrev_b64 v[11:12], 2, v[11:12]
	v_add_co_ci_u32_e32 v8, vcc_lo, v1, v8, vcc_lo
	v_add_co_u32 v9, vcc_lo, v0, v9
	v_lshlrev_b64 v[15:16], 2, v[15:16]
	v_add_co_ci_u32_e32 v10, vcc_lo, v1, v10, vcc_lo
	v_add_co_u32 v11, vcc_lo, v0, v11
	v_add_co_ci_u32_e32 v12, vcc_lo, v1, v12, vcc_lo
	v_add_co_u32 v15, vcc_lo, v0, v15
	v_add_co_ci_u32_e32 v16, vcc_lo, v1, v16, vcc_lo
	v_cmp_eq_u32_e32 vcc_lo, 0x8e, v3
	s_waitcnt lgkmcnt(1)
	global_store_dword v[7:8], v5, off
	global_store_dword v[9:10], v6, off
	s_waitcnt lgkmcnt(0)
	global_store_dword v[11:12], v13, off
	global_store_dword v[15:16], v14, off
	s_and_b32 exec_lo, exec_lo, vcc_lo
	s_cbranch_execz .LBB0_26
; %bb.25:
	ds_read_b32 v2, v4 offset:5720
	v_add_co_u32 v0, vcc_lo, 0x1000, v0
	v_add_co_ci_u32_e32 v1, vcc_lo, 0, v1, vcc_lo
	s_waitcnt lgkmcnt(0)
	global_store_dword v[0:1], v2, off offset:1624
.LBB0_26:
	s_endpgm
	.section	.rodata,"a",@progbits
	.p2align	6, 0x0
	.amdhsa_kernel fft_rtc_fwd_len1430_factors_13_11_10_wgs_143_tpt_143_half_op_CI_CI_unitstride_sbrr_R2C_dirReg
		.amdhsa_group_segment_fixed_size 0
		.amdhsa_private_segment_fixed_size 0
		.amdhsa_kernarg_size 104
		.amdhsa_user_sgpr_count 6
		.amdhsa_user_sgpr_private_segment_buffer 1
		.amdhsa_user_sgpr_dispatch_ptr 0
		.amdhsa_user_sgpr_queue_ptr 0
		.amdhsa_user_sgpr_kernarg_segment_ptr 1
		.amdhsa_user_sgpr_dispatch_id 0
		.amdhsa_user_sgpr_flat_scratch_init 0
		.amdhsa_user_sgpr_private_segment_size 0
		.amdhsa_wavefront_size32 1
		.amdhsa_uses_dynamic_stack 0
		.amdhsa_system_sgpr_private_segment_wavefront_offset 0
		.amdhsa_system_sgpr_workgroup_id_x 1
		.amdhsa_system_sgpr_workgroup_id_y 0
		.amdhsa_system_sgpr_workgroup_id_z 0
		.amdhsa_system_sgpr_workgroup_info 0
		.amdhsa_system_vgpr_workitem_id 0
		.amdhsa_next_free_vgpr 125
		.amdhsa_next_free_sgpr 27
		.amdhsa_reserve_vcc 1
		.amdhsa_reserve_flat_scratch 0
		.amdhsa_float_round_mode_32 0
		.amdhsa_float_round_mode_16_64 0
		.amdhsa_float_denorm_mode_32 3
		.amdhsa_float_denorm_mode_16_64 3
		.amdhsa_dx10_clamp 1
		.amdhsa_ieee_mode 1
		.amdhsa_fp16_overflow 0
		.amdhsa_workgroup_processor_mode 1
		.amdhsa_memory_ordered 1
		.amdhsa_forward_progress 0
		.amdhsa_shared_vgpr_count 0
		.amdhsa_exception_fp_ieee_invalid_op 0
		.amdhsa_exception_fp_denorm_src 0
		.amdhsa_exception_fp_ieee_div_zero 0
		.amdhsa_exception_fp_ieee_overflow 0
		.amdhsa_exception_fp_ieee_underflow 0
		.amdhsa_exception_fp_ieee_inexact 0
		.amdhsa_exception_int_div_zero 0
	.end_amdhsa_kernel
	.text
.Lfunc_end0:
	.size	fft_rtc_fwd_len1430_factors_13_11_10_wgs_143_tpt_143_half_op_CI_CI_unitstride_sbrr_R2C_dirReg, .Lfunc_end0-fft_rtc_fwd_len1430_factors_13_11_10_wgs_143_tpt_143_half_op_CI_CI_unitstride_sbrr_R2C_dirReg
                                        ; -- End function
	.section	.AMDGPU.csdata,"",@progbits
; Kernel info:
; codeLenInByte = 10784
; NumSgprs: 29
; NumVgprs: 125
; ScratchSize: 0
; MemoryBound: 0
; FloatMode: 240
; IeeeMode: 1
; LDSByteSize: 0 bytes/workgroup (compile time only)
; SGPRBlocks: 3
; VGPRBlocks: 15
; NumSGPRsForWavesPerEU: 29
; NumVGPRsForWavesPerEU: 125
; Occupancy: 8
; WaveLimiterHint : 1
; COMPUTE_PGM_RSRC2:SCRATCH_EN: 0
; COMPUTE_PGM_RSRC2:USER_SGPR: 6
; COMPUTE_PGM_RSRC2:TRAP_HANDLER: 0
; COMPUTE_PGM_RSRC2:TGID_X_EN: 1
; COMPUTE_PGM_RSRC2:TGID_Y_EN: 0
; COMPUTE_PGM_RSRC2:TGID_Z_EN: 0
; COMPUTE_PGM_RSRC2:TIDIG_COMP_CNT: 0
	.text
	.p2alignl 6, 3214868480
	.fill 48, 4, 3214868480
	.type	__hip_cuid_dfdb11324d95a59f,@object ; @__hip_cuid_dfdb11324d95a59f
	.section	.bss,"aw",@nobits
	.globl	__hip_cuid_dfdb11324d95a59f
__hip_cuid_dfdb11324d95a59f:
	.byte	0                               ; 0x0
	.size	__hip_cuid_dfdb11324d95a59f, 1

	.ident	"AMD clang version 19.0.0git (https://github.com/RadeonOpenCompute/llvm-project roc-6.4.0 25133 c7fe45cf4b819c5991fe208aaa96edf142730f1d)"
	.section	".note.GNU-stack","",@progbits
	.addrsig
	.addrsig_sym __hip_cuid_dfdb11324d95a59f
	.amdgpu_metadata
---
amdhsa.kernels:
  - .args:
      - .actual_access:  read_only
        .address_space:  global
        .offset:         0
        .size:           8
        .value_kind:     global_buffer
      - .offset:         8
        .size:           8
        .value_kind:     by_value
      - .actual_access:  read_only
        .address_space:  global
        .offset:         16
        .size:           8
        .value_kind:     global_buffer
      - .actual_access:  read_only
        .address_space:  global
        .offset:         24
        .size:           8
        .value_kind:     global_buffer
      - .actual_access:  read_only
        .address_space:  global
        .offset:         32
        .size:           8
        .value_kind:     global_buffer
      - .offset:         40
        .size:           8
        .value_kind:     by_value
      - .actual_access:  read_only
        .address_space:  global
        .offset:         48
        .size:           8
        .value_kind:     global_buffer
      - .actual_access:  read_only
        .address_space:  global
        .offset:         56
        .size:           8
        .value_kind:     global_buffer
      - .offset:         64
        .size:           4
        .value_kind:     by_value
      - .actual_access:  read_only
        .address_space:  global
        .offset:         72
        .size:           8
        .value_kind:     global_buffer
      - .actual_access:  read_only
        .address_space:  global
        .offset:         80
        .size:           8
        .value_kind:     global_buffer
      - .actual_access:  read_only
        .address_space:  global
        .offset:         88
        .size:           8
        .value_kind:     global_buffer
      - .actual_access:  write_only
        .address_space:  global
        .offset:         96
        .size:           8
        .value_kind:     global_buffer
    .group_segment_fixed_size: 0
    .kernarg_segment_align: 8
    .kernarg_segment_size: 104
    .language:       OpenCL C
    .language_version:
      - 2
      - 0
    .max_flat_workgroup_size: 143
    .name:           fft_rtc_fwd_len1430_factors_13_11_10_wgs_143_tpt_143_half_op_CI_CI_unitstride_sbrr_R2C_dirReg
    .private_segment_fixed_size: 0
    .sgpr_count:     29
    .sgpr_spill_count: 0
    .symbol:         fft_rtc_fwd_len1430_factors_13_11_10_wgs_143_tpt_143_half_op_CI_CI_unitstride_sbrr_R2C_dirReg.kd
    .uniform_work_group_size: 1
    .uses_dynamic_stack: false
    .vgpr_count:     125
    .vgpr_spill_count: 0
    .wavefront_size: 32
    .workgroup_processor_mode: 1
amdhsa.target:   amdgcn-amd-amdhsa--gfx1030
amdhsa.version:
  - 1
  - 2
...

	.end_amdgpu_metadata
